;; amdgpu-corpus repo=ROCm/rocFFT kind=compiled arch=gfx906 opt=O3
	.text
	.amdgcn_target "amdgcn-amd-amdhsa--gfx906"
	.amdhsa_code_object_version 6
	.protected	fft_rtc_back_len330_factors_11_10_3_wgs_99_tpt_33_dp_op_CI_CI_sbrr_dirReg ; -- Begin function fft_rtc_back_len330_factors_11_10_3_wgs_99_tpt_33_dp_op_CI_CI_sbrr_dirReg
	.globl	fft_rtc_back_len330_factors_11_10_3_wgs_99_tpt_33_dp_op_CI_CI_sbrr_dirReg
	.p2align	8
	.type	fft_rtc_back_len330_factors_11_10_3_wgs_99_tpt_33_dp_op_CI_CI_sbrr_dirReg,@function
fft_rtc_back_len330_factors_11_10_3_wgs_99_tpt_33_dp_op_CI_CI_sbrr_dirReg: ; @fft_rtc_back_len330_factors_11_10_3_wgs_99_tpt_33_dp_op_CI_CI_sbrr_dirReg
; %bb.0:
	s_load_dwordx4 s[16:19], s[4:5], 0x18
	s_load_dwordx4 s[12:15], s[4:5], 0x0
	;; [unrolled: 1-line block ×3, first 2 shown]
	v_mul_u32_u24_e32 v1, 0x7c2, v0
	v_lshrrev_b32_e32 v1, 16, v1
	s_waitcnt lgkmcnt(0)
	s_load_dwordx2 s[22:23], s[16:17], 0x0
	s_load_dwordx2 s[20:21], s[18:19], 0x0
	v_mad_u64_u32 v[3:4], s[0:1], s6, 3, v[1:2]
	v_mov_b32_e32 v5, 0
	v_mov_b32_e32 v1, 0
	;; [unrolled: 1-line block ×3, first 2 shown]
	v_cmp_lt_u64_e64 s[0:1], s[14:15], 2
	v_mov_b32_e32 v2, 0
	v_mov_b32_e32 v49, v2
	;; [unrolled: 1-line block ×3, first 2 shown]
	s_and_b64 vcc, exec, s[0:1]
	v_mov_b32_e32 v48, v1
	v_mov_b32_e32 v50, v3
	s_cbranch_vccnz .LBB0_8
; %bb.1:
	s_load_dwordx2 s[0:1], s[4:5], 0x10
	s_add_u32 s2, s18, 8
	s_addc_u32 s3, s19, 0
	s_add_u32 s6, s16, 8
	v_mov_b32_e32 v1, 0
	s_addc_u32 s7, s17, 0
	v_mov_b32_e32 v2, 0
	s_waitcnt lgkmcnt(0)
	s_add_u32 s24, s0, 8
	v_mov_b32_e32 v49, v2
	v_mov_b32_e32 v8, v4
	s_addc_u32 s25, s1, 0
	s_mov_b64 s[26:27], 1
	v_mov_b32_e32 v48, v1
	v_mov_b32_e32 v7, v3
.LBB0_2:                                ; =>This Inner Loop Header: Depth=1
	s_load_dwordx2 s[28:29], s[24:25], 0x0
                                        ; implicit-def: $vgpr50_vgpr51
	s_waitcnt lgkmcnt(0)
	v_or_b32_e32 v6, s29, v8
	v_cmp_ne_u64_e32 vcc, 0, v[5:6]
	s_and_saveexec_b64 s[0:1], vcc
	s_xor_b64 s[30:31], exec, s[0:1]
	s_cbranch_execz .LBB0_4
; %bb.3:                                ;   in Loop: Header=BB0_2 Depth=1
	v_cvt_f32_u32_e32 v4, s28
	v_cvt_f32_u32_e32 v6, s29
	s_sub_u32 s0, 0, s28
	s_subb_u32 s1, 0, s29
	v_mac_f32_e32 v4, 0x4f800000, v6
	v_rcp_f32_e32 v4, v4
	v_mul_f32_e32 v4, 0x5f7ffffc, v4
	v_mul_f32_e32 v6, 0x2f800000, v4
	v_trunc_f32_e32 v6, v6
	v_mac_f32_e32 v4, 0xcf800000, v6
	v_cvt_u32_f32_e32 v6, v6
	v_cvt_u32_f32_e32 v4, v4
	v_mul_lo_u32 v9, s0, v6
	v_mul_hi_u32 v10, s0, v4
	v_mul_lo_u32 v12, s1, v4
	v_mul_lo_u32 v11, s0, v4
	v_add_u32_e32 v9, v10, v9
	v_add_u32_e32 v9, v9, v12
	v_mul_hi_u32 v10, v4, v11
	v_mul_lo_u32 v12, v4, v9
	v_mul_hi_u32 v14, v4, v9
	v_mul_hi_u32 v13, v6, v11
	v_mul_lo_u32 v11, v6, v11
	v_mul_hi_u32 v15, v6, v9
	v_add_co_u32_e32 v10, vcc, v10, v12
	v_addc_co_u32_e32 v12, vcc, 0, v14, vcc
	v_mul_lo_u32 v9, v6, v9
	v_add_co_u32_e32 v10, vcc, v10, v11
	v_addc_co_u32_e32 v10, vcc, v12, v13, vcc
	v_addc_co_u32_e32 v11, vcc, 0, v15, vcc
	v_add_co_u32_e32 v9, vcc, v10, v9
	v_addc_co_u32_e32 v10, vcc, 0, v11, vcc
	v_add_co_u32_e32 v4, vcc, v4, v9
	v_addc_co_u32_e32 v6, vcc, v6, v10, vcc
	v_mul_lo_u32 v9, s0, v6
	v_mul_hi_u32 v10, s0, v4
	v_mul_lo_u32 v11, s1, v4
	v_mul_lo_u32 v12, s0, v4
	v_add_u32_e32 v9, v10, v9
	v_add_u32_e32 v9, v9, v11
	v_mul_lo_u32 v13, v4, v9
	v_mul_hi_u32 v14, v4, v12
	v_mul_hi_u32 v15, v4, v9
	;; [unrolled: 1-line block ×3, first 2 shown]
	v_mul_lo_u32 v12, v6, v12
	v_mul_hi_u32 v10, v6, v9
	v_add_co_u32_e32 v13, vcc, v14, v13
	v_addc_co_u32_e32 v14, vcc, 0, v15, vcc
	v_mul_lo_u32 v9, v6, v9
	v_add_co_u32_e32 v12, vcc, v13, v12
	v_addc_co_u32_e32 v11, vcc, v14, v11, vcc
	v_addc_co_u32_e32 v10, vcc, 0, v10, vcc
	v_add_co_u32_e32 v9, vcc, v11, v9
	v_addc_co_u32_e32 v10, vcc, 0, v10, vcc
	v_add_co_u32_e32 v4, vcc, v4, v9
	v_addc_co_u32_e32 v6, vcc, v6, v10, vcc
	v_mad_u64_u32 v[9:10], s[0:1], v7, v6, 0
	v_mul_hi_u32 v11, v7, v4
	v_add_co_u32_e32 v13, vcc, v11, v9
	v_addc_co_u32_e32 v14, vcc, 0, v10, vcc
	v_mad_u64_u32 v[9:10], s[0:1], v8, v4, 0
	v_mad_u64_u32 v[11:12], s[0:1], v8, v6, 0
	v_add_co_u32_e32 v4, vcc, v13, v9
	v_addc_co_u32_e32 v4, vcc, v14, v10, vcc
	v_addc_co_u32_e32 v6, vcc, 0, v12, vcc
	v_add_co_u32_e32 v4, vcc, v4, v11
	v_addc_co_u32_e32 v6, vcc, 0, v6, vcc
	v_mul_lo_u32 v11, s29, v4
	v_mul_lo_u32 v12, s28, v6
	v_mad_u64_u32 v[9:10], s[0:1], s28, v4, 0
	v_add3_u32 v10, v10, v12, v11
	v_sub_u32_e32 v11, v8, v10
	v_mov_b32_e32 v12, s29
	v_sub_co_u32_e32 v9, vcc, v7, v9
	v_subb_co_u32_e64 v11, s[0:1], v11, v12, vcc
	v_subrev_co_u32_e64 v12, s[0:1], s28, v9
	v_subbrev_co_u32_e64 v11, s[0:1], 0, v11, s[0:1]
	v_cmp_le_u32_e64 s[0:1], s29, v11
	v_cndmask_b32_e64 v13, 0, -1, s[0:1]
	v_cmp_le_u32_e64 s[0:1], s28, v12
	v_cndmask_b32_e64 v12, 0, -1, s[0:1]
	v_cmp_eq_u32_e64 s[0:1], s29, v11
	v_cndmask_b32_e64 v11, v13, v12, s[0:1]
	v_add_co_u32_e64 v12, s[0:1], 2, v4
	v_addc_co_u32_e64 v13, s[0:1], 0, v6, s[0:1]
	v_add_co_u32_e64 v14, s[0:1], 1, v4
	v_addc_co_u32_e64 v15, s[0:1], 0, v6, s[0:1]
	v_subb_co_u32_e32 v10, vcc, v8, v10, vcc
	v_cmp_ne_u32_e64 s[0:1], 0, v11
	v_cmp_le_u32_e32 vcc, s29, v10
	v_cndmask_b32_e64 v11, v15, v13, s[0:1]
	v_cndmask_b32_e64 v13, 0, -1, vcc
	v_cmp_le_u32_e32 vcc, s28, v9
	v_cndmask_b32_e64 v9, 0, -1, vcc
	v_cmp_eq_u32_e32 vcc, s29, v10
	v_cndmask_b32_e32 v9, v13, v9, vcc
	v_cmp_ne_u32_e32 vcc, 0, v9
	v_cndmask_b32_e32 v51, v6, v11, vcc
	v_cndmask_b32_e64 v6, v14, v12, s[0:1]
	v_cndmask_b32_e32 v50, v4, v6, vcc
.LBB0_4:                                ;   in Loop: Header=BB0_2 Depth=1
	s_andn2_saveexec_b64 s[0:1], s[30:31]
	s_cbranch_execz .LBB0_6
; %bb.5:                                ;   in Loop: Header=BB0_2 Depth=1
	v_cvt_f32_u32_e32 v4, s28
	s_sub_i32 s30, 0, s28
	v_mov_b32_e32 v51, v5
	v_rcp_iflag_f32_e32 v4, v4
	v_mul_f32_e32 v4, 0x4f7ffffe, v4
	v_cvt_u32_f32_e32 v4, v4
	v_mul_lo_u32 v6, s30, v4
	v_mul_hi_u32 v6, v4, v6
	v_add_u32_e32 v4, v4, v6
	v_mul_hi_u32 v4, v7, v4
	v_mul_lo_u32 v6, v4, s28
	v_add_u32_e32 v9, 1, v4
	v_sub_u32_e32 v6, v7, v6
	v_subrev_u32_e32 v10, s28, v6
	v_cmp_le_u32_e32 vcc, s28, v6
	v_cndmask_b32_e32 v6, v6, v10, vcc
	v_cndmask_b32_e32 v4, v4, v9, vcc
	v_add_u32_e32 v9, 1, v4
	v_cmp_le_u32_e32 vcc, s28, v6
	v_cndmask_b32_e32 v50, v4, v9, vcc
.LBB0_6:                                ;   in Loop: Header=BB0_2 Depth=1
	s_or_b64 exec, exec, s[0:1]
	v_mul_lo_u32 v4, v51, s28
	v_mul_lo_u32 v6, v50, s29
	v_mad_u64_u32 v[9:10], s[0:1], v50, s28, 0
	s_load_dwordx2 s[0:1], s[6:7], 0x0
	s_load_dwordx2 s[28:29], s[2:3], 0x0
	v_add3_u32 v4, v10, v6, v4
	v_sub_co_u32_e32 v6, vcc, v7, v9
	v_subb_co_u32_e32 v4, vcc, v8, v4, vcc
	s_waitcnt lgkmcnt(0)
	v_mul_lo_u32 v7, s0, v4
	v_mul_lo_u32 v8, s1, v6
	v_mad_u64_u32 v[1:2], s[0:1], s0, v6, v[1:2]
	s_add_u32 s26, s26, 1
	s_addc_u32 s27, s27, 0
	s_add_u32 s2, s2, 8
	v_mul_lo_u32 v4, s28, v4
	v_mul_lo_u32 v9, s29, v6
	v_mad_u64_u32 v[48:49], s[0:1], s28, v6, v[48:49]
	v_add3_u32 v2, v8, v2, v7
	s_addc_u32 s3, s3, 0
	v_mov_b32_e32 v6, s14
	s_add_u32 s6, s6, 8
	v_mov_b32_e32 v7, s15
	s_addc_u32 s7, s7, 0
	v_cmp_ge_u64_e32 vcc, s[26:27], v[6:7]
	s_add_u32 s24, s24, 8
	v_add3_u32 v49, v9, v49, v4
	s_addc_u32 s25, s25, 0
	s_cbranch_vccnz .LBB0_8
; %bb.7:                                ;   in Loop: Header=BB0_2 Depth=1
	v_mov_b32_e32 v7, v50
	v_mov_b32_e32 v8, v51
	s_branch .LBB0_2
.LBB0_8:
	s_mov_b32 s2, 0xaaaaaaab
	s_load_dwordx2 s[0:1], s[4:5], 0x28
	v_mul_hi_u32 v4, v3, s2
	s_lshl_b64 s[6:7], s[14:15], 3
	s_add_u32 s2, s18, s6
	s_addc_u32 s3, s19, s7
	v_lshrrev_b32_e32 v4, 1, v4
	v_lshl_add_u32 v4, v4, 1, v4
	s_waitcnt lgkmcnt(0)
	v_cmp_gt_u64_e32 vcc, s[0:1], v[50:51]
	v_cmp_le_u64_e64 s[0:1], s[0:1], v[50:51]
	v_sub_u32_e32 v3, v3, v4
                                        ; implicit-def: $vgpr112
	s_and_saveexec_b64 s[4:5], s[0:1]
	s_xor_b64 s[0:1], exec, s[4:5]
; %bb.9:
	s_mov_b32 s4, 0x7c1f07d
	v_mul_hi_u32 v1, v0, s4
	v_mul_u32_u24_e32 v1, 33, v1
	v_sub_u32_e32 v112, v0, v1
                                        ; implicit-def: $vgpr0
                                        ; implicit-def: $vgpr1_vgpr2
; %bb.10:
	s_or_saveexec_b64 s[4:5], s[0:1]
	v_mul_u32_u24_e32 v114, 0x14a, v3
	v_lshlrev_b32_e32 v117, 4, v114
	s_xor_b64 exec, exec, s[4:5]
	s_cbranch_execz .LBB0_12
; %bb.11:
	s_add_u32 s0, s16, s6
	s_mov_b32 s6, 0x7c1f07d
	v_mul_hi_u32 v3, v0, s6
	s_addc_u32 s1, s17, s7
	s_load_dwordx2 s[0:1], s[0:1], 0x0
	v_mul_u32_u24_e32 v3, 33, v3
	v_sub_u32_e32 v112, v0, v3
	v_mad_u64_u32 v[3:4], s[6:7], s22, v112, 0
	s_waitcnt lgkmcnt(0)
	v_mul_lo_u32 v9, s1, v50
	v_mul_lo_u32 v10, s0, v51
	v_mad_u64_u32 v[5:6], s[0:1], s0, v50, 0
	v_mov_b32_e32 v0, v4
	v_mad_u64_u32 v[7:8], s[0:1], s23, v112, v[0:1]
	v_add3_u32 v6, v6, v10, v9
	v_lshlrev_b64 v[5:6], 4, v[5:6]
	v_mov_b32_e32 v4, v7
	v_mov_b32_e32 v0, s9
	v_add_co_u32_e64 v7, s[0:1], s8, v5
	v_add_u32_e32 v9, 33, v112
	v_addc_co_u32_e64 v8, s[0:1], v0, v6, s[0:1]
	v_mad_u64_u32 v[5:6], s[0:1], s22, v9, 0
	v_lshlrev_b64 v[0:1], 4, v[1:2]
	v_add_u32_e32 v17, 0x63, v112
	v_add_co_u32_e64 v44, s[0:1], v7, v0
	v_mov_b32_e32 v2, v6
	v_addc_co_u32_e64 v45, s[0:1], v8, v1, s[0:1]
	v_lshlrev_b64 v[0:1], 4, v[3:4]
	v_mad_u64_u32 v[2:3], s[0:1], s23, v9, v[2:3]
	v_add_co_u32_e64 v8, s[0:1], v44, v0
	v_mov_b32_e32 v6, v2
	v_add_u32_e32 v2, 0x42, v112
	v_addc_co_u32_e64 v9, s[0:1], v45, v1, s[0:1]
	v_mad_u64_u32 v[10:11], s[0:1], s22, v2, 0
	v_lshlrev_b64 v[0:1], 4, v[5:6]
	v_add_u32_e32 v26, 0xa5, v112
	v_add_co_u32_e64 v12, s[0:1], v44, v0
	v_mov_b32_e32 v0, v11
	v_addc_co_u32_e64 v13, s[0:1], v45, v1, s[0:1]
	v_mad_u64_u32 v[14:15], s[0:1], s23, v2, v[0:1]
	v_mad_u64_u32 v[15:16], s[0:1], s22, v17, 0
	v_mov_b32_e32 v11, v14
	global_load_dwordx4 v[0:3], v[8:9], off
	global_load_dwordx4 v[4:7], v[12:13], off
	v_lshlrev_b64 v[8:9], 4, v[10:11]
	v_mov_b32_e32 v10, v16
	v_mad_u64_u32 v[10:11], s[0:1], s23, v17, v[10:11]
	v_add_co_u32_e64 v17, s[0:1], v44, v8
	v_mov_b32_e32 v16, v10
	v_add_u32_e32 v10, 0x84, v112
	v_addc_co_u32_e64 v18, s[0:1], v45, v9, s[0:1]
	v_mad_u64_u32 v[19:20], s[0:1], s22, v10, 0
	v_lshlrev_b64 v[8:9], 4, v[15:16]
	v_add_u32_e32 v33, 0xe7, v112
	v_add_co_u32_e64 v21, s[0:1], v44, v8
	v_mov_b32_e32 v8, v20
	v_addc_co_u32_e64 v22, s[0:1], v45, v9, s[0:1]
	v_mad_u64_u32 v[23:24], s[0:1], s23, v10, v[8:9]
	v_mad_u64_u32 v[24:25], s[0:1], s22, v26, 0
	global_load_dwordx4 v[8:11], v[17:18], off
	global_load_dwordx4 v[12:15], v[21:22], off
	v_mov_b32_e32 v20, v23
	v_mov_b32_e32 v18, v25
	v_lshlrev_b64 v[16:17], 4, v[19:20]
	v_mad_u64_u32 v[18:19], s[0:1], s23, v26, v[18:19]
	v_add_co_u32_e64 v26, s[0:1], v44, v16
	v_add_u32_e32 v19, 0xc6, v112
	v_mov_b32_e32 v25, v18
	v_addc_co_u32_e64 v27, s[0:1], v45, v17, s[0:1]
	v_lshlrev_b64 v[16:17], 4, v[24:25]
	v_mad_u64_u32 v[24:25], s[0:1], s22, v19, 0
	v_add_co_u32_e64 v28, s[0:1], v44, v16
	v_mov_b32_e32 v16, v25
	v_addc_co_u32_e64 v29, s[0:1], v45, v17, s[0:1]
	v_mad_u64_u32 v[30:31], s[0:1], s23, v19, v[16:17]
	v_mad_u64_u32 v[31:32], s[0:1], s22, v33, 0
	global_load_dwordx4 v[16:19], v[26:27], off
	global_load_dwordx4 v[20:23], v[28:29], off
	v_mov_b32_e32 v25, v30
	v_mov_b32_e32 v26, v32
	v_mad_u64_u32 v[26:27], s[0:1], s23, v33, v[26:27]
	v_lshlrev_b64 v[24:25], 4, v[24:25]
	v_add_u32_e32 v42, 0x129, v112
	v_add_co_u32_e64 v33, s[0:1], v44, v24
	v_mov_b32_e32 v32, v26
	v_add_u32_e32 v26, 0x108, v112
	v_addc_co_u32_e64 v34, s[0:1], v45, v25, s[0:1]
	v_mad_u64_u32 v[35:36], s[0:1], s22, v26, 0
	v_lshlrev_b64 v[24:25], 4, v[31:32]
	v_add_co_u32_e64 v37, s[0:1], v44, v24
	v_mov_b32_e32 v24, v36
	v_addc_co_u32_e64 v38, s[0:1], v45, v25, s[0:1]
	v_mad_u64_u32 v[39:40], s[0:1], s23, v26, v[24:25]
	v_mad_u64_u32 v[40:41], s[0:1], s22, v42, 0
	global_load_dwordx4 v[24:27], v[33:34], off
	global_load_dwordx4 v[28:31], v[37:38], off
	v_mov_b32_e32 v36, v39
	v_mov_b32_e32 v34, v41
	v_lshlrev_b64 v[32:33], 4, v[35:36]
	v_mad_u64_u32 v[34:35], s[0:1], s23, v42, v[34:35]
	v_add_co_u32_e64 v42, s[0:1], v44, v32
	v_mov_b32_e32 v41, v34
	v_addc_co_u32_e64 v43, s[0:1], v45, v33, s[0:1]
	v_lshlrev_b64 v[32:33], 4, v[40:41]
	v_add_co_u32_e64 v40, s[0:1], v44, v32
	v_addc_co_u32_e64 v41, s[0:1], v45, v33, s[0:1]
	global_load_dwordx4 v[32:35], v[42:43], off
	global_load_dwordx4 v[36:39], v[40:41], off
	v_lshlrev_b32_e32 v40, 4, v112
	v_add3_u32 v40, 0, v117, v40
	s_waitcnt vmcnt(9)
	ds_write_b128 v40, v[0:3]
	s_waitcnt vmcnt(8)
	ds_write_b128 v40, v[4:7] offset:528
	s_waitcnt vmcnt(7)
	ds_write_b128 v40, v[8:11] offset:1056
	;; [unrolled: 2-line block ×9, first 2 shown]
.LBB0_12:
	s_or_b64 exec, exec, s[4:5]
	v_lshlrev_b32_e32 v0, 4, v112
	v_add_u32_e32 v116, 0, v0
	v_add_u32_e32 v113, v116, v117
	s_waitcnt lgkmcnt(0)
	s_barrier
	ds_read_b128 v[4:7], v113 offset:4800
	ds_read_b128 v[40:43], v113 offset:480
	v_add_u32_e32 v115, 0, v117
	v_add_u32_e32 v118, v115, v0
	ds_read_b128 v[12:15], v118
	ds_read_b128 v[8:11], v113 offset:4320
	ds_read_b128 v[44:47], v113 offset:960
	s_waitcnt lgkmcnt(3)
	v_add_f64 v[62:63], v[42:43], -v[6:7]
	s_mov_b32 s6, 0xf8bb580b
	s_mov_b32 s7, 0xbfe14ced
	v_add_f64 v[52:53], v[40:41], v[4:5]
	s_waitcnt lgkmcnt(0)
	v_add_f64 v[80:81], v[46:47], -v[10:11]
	v_add_f64 v[84:85], v[42:43], v[6:7]
	s_mov_b32 s4, 0x8764f0ba
	s_mov_b32 s18, 0x8eee2c13
	v_mul_f64 v[54:55], v[62:63], s[6:7]
	s_mov_b32 s5, 0x3feaeb8c
	s_mov_b32 s19, 0xbfed1bb4
	v_add_f64 v[58:59], v[44:45], v[8:9]
	v_mul_f64 v[56:57], v[80:81], s[18:19]
	v_add_f64 v[64:65], v[40:41], -v[4:5]
	v_mul_f64 v[60:61], v[84:85], s[4:5]
	v_add_f64 v[78:79], v[46:47], v[10:11]
	v_fma_f64 v[0:1], v[52:53], s[4:5], -v[54:55]
	s_mov_b32 s14, 0xd9c712b6
	s_mov_b32 s15, 0x3fda9628
	ds_read_b128 v[36:39], v113 offset:1440
	ds_read_b128 v[16:19], v113 offset:3840
	v_fma_f64 v[2:3], v[58:59], s[14:15], -v[56:57]
	v_add_f64 v[74:75], v[44:45], -v[8:9]
	v_fma_f64 v[20:21], v[64:65], s[6:7], v[60:61]
	v_mul_f64 v[68:69], v[78:79], s[14:15]
	v_add_f64 v[0:1], v[12:13], v[0:1]
	s_waitcnt lgkmcnt(0)
	v_add_f64 v[82:83], v[38:39], -v[18:19]
	v_add_f64 v[88:89], v[38:39], v[18:19]
	s_mov_b32 s22, 0x43842ef
	s_mov_b32 s16, 0x640f44db
	;; [unrolled: 1-line block ×4, first 2 shown]
	v_fma_f64 v[24:25], v[74:75], s[18:19], v[68:69]
	v_add_f64 v[0:1], v[2:3], v[0:1]
	v_add_f64 v[2:3], v[14:15], v[20:21]
	ds_read_b128 v[20:23], v113 offset:3360
	ds_read_b128 v[32:35], v113 offset:1920
	v_add_f64 v[70:71], v[36:37], v[16:17]
	v_mul_f64 v[66:67], v[82:83], s[22:23]
	v_add_f64 v[76:77], v[36:37], -v[16:17]
	v_mul_f64 v[72:73], v[88:89], s[16:17]
	s_waitcnt lgkmcnt(0)
	v_add_f64 v[98:99], v[34:35], -v[22:23]
	v_add_f64 v[106:107], v[34:35], v[22:23]
	v_add_f64 v[2:3], v[24:25], v[2:3]
	ds_read_b128 v[24:27], v113 offset:2400
	ds_read_b128 v[28:31], v113 offset:2880
	s_mov_b32 s24, 0x7f775887
	s_mov_b32 s26, 0xbb3a28a1
	;; [unrolled: 1-line block ×4, first 2 shown]
	v_fma_f64 v[94:95], v[70:71], s[16:17], -v[66:67]
	v_fma_f64 v[96:97], v[76:77], s[22:23], v[72:73]
	v_add_f64 v[90:91], v[32:33], v[20:21]
	v_mul_f64 v[86:87], v[98:99], s[26:27]
	v_add_f64 v[104:105], v[32:33], -v[20:21]
	v_mul_f64 v[92:93], v[106:107], s[24:25]
	s_waitcnt lgkmcnt(0)
	v_add_f64 v[102:103], v[26:27], -v[30:31]
	v_add_f64 v[108:109], v[26:27], v[30:31]
	s_mov_b32 s28, 0x9bcd5057
	s_mov_b32 s29, 0xbfeeb42a
	;; [unrolled: 1-line block ×4, first 2 shown]
	v_add_f64 v[0:1], v[94:95], v[0:1]
	v_add_f64 v[2:3], v[96:97], v[2:3]
	v_fma_f64 v[119:120], v[90:91], s[24:25], -v[86:87]
	v_fma_f64 v[121:122], v[104:105], s[26:27], v[92:93]
	v_add_f64 v[94:95], v[24:25], v[28:29]
	v_mul_f64 v[96:97], v[102:103], s[30:31]
	v_add_f64 v[110:111], v[24:25], -v[28:29]
	v_mul_f64 v[100:101], v[108:109], s[28:29]
	v_cmp_gt_u32_e64 s[0:1], 30, v112
	v_add_f64 v[0:1], v[119:120], v[0:1]
	v_add_f64 v[2:3], v[121:122], v[2:3]
	s_barrier
	v_fma_f64 v[119:120], v[94:95], s[28:29], -v[96:97]
	v_fma_f64 v[121:122], v[110:111], s[30:31], v[100:101]
	v_add_f64 v[0:1], v[119:120], v[0:1]
	v_add_f64 v[2:3], v[121:122], v[2:3]
	s_and_saveexec_b64 s[8:9], s[0:1]
	s_cbranch_execz .LBB0_14
; %bb.13:
	v_mul_f64 v[119:120], v[64:65], s[30:31]
	s_mov_b32 s1, 0x3fe14ced
	s_mov_b32 s0, s6
	v_mul_f64 v[121:122], v[62:63], s[30:31]
	v_mul_f64 v[127:128], v[74:75], s[0:1]
	;; [unrolled: 1-line block ×4, first 2 shown]
	s_mov_b32 s35, 0x3fed1bb4
	v_fma_f64 v[129:130], v[84:85], s[28:29], v[119:120]
	s_mov_b32 s34, s18
	v_mul_f64 v[125:126], v[82:83], s[26:27]
	v_fma_f64 v[139:140], v[52:53], s[28:29], -v[121:122]
	v_fma_f64 v[141:142], v[78:79], s[4:5], v[127:128]
	v_mul_f64 v[145:146], v[104:105], s[34:35]
	v_fma_f64 v[147:148], v[88:89], s[24:25], v[123:124]
	v_fma_f64 v[149:150], v[58:59], s[4:5], -v[137:138]
	v_add_f64 v[129:130], v[14:15], v[129:130]
	v_fma_f64 v[119:120], v[84:85], s[28:29], -v[119:120]
	v_fma_f64 v[121:122], v[52:53], s[28:29], v[121:122]
	v_add_f64 v[139:140], v[12:13], v[139:140]
	v_mul_f64 v[131:132], v[110:111], s[22:23]
	v_mul_f64 v[135:136], v[64:65], s[26:27]
	v_fma_f64 v[151:152], v[70:71], s[24:25], -v[125:126]
	v_fma_f64 v[153:154], v[106:107], s[14:15], v[145:146]
	v_add_f64 v[129:130], v[141:142], v[129:130]
	v_mul_f64 v[141:142], v[98:99], s[34:35]
	v_fma_f64 v[127:128], v[78:79], s[4:5], -v[127:128]
	v_add_f64 v[139:140], v[149:150], v[139:140]
	v_add_f64 v[119:120], v[14:15], v[119:120]
	v_fma_f64 v[137:138], v[58:59], s[4:5], v[137:138]
	v_add_f64 v[121:122], v[12:13], v[121:122]
	s_mov_b32 s37, 0x3fefac9e
	v_add_f64 v[129:130], v[147:148], v[129:130]
	s_mov_b32 s36, s22
	v_mul_f64 v[133:134], v[102:103], s[22:23]
	v_mul_f64 v[143:144], v[62:63], s[26:27]
	v_fma_f64 v[147:148], v[108:109], s[16:17], v[131:132]
	v_fma_f64 v[123:124], v[88:89], s[24:25], -v[123:124]
	v_fma_f64 v[149:150], v[90:91], s[14:15], -v[141:142]
	v_add_f64 v[139:140], v[151:152], v[139:140]
	v_add_f64 v[129:130], v[153:154], v[129:130]
	;; [unrolled: 1-line block ×3, first 2 shown]
	v_mul_f64 v[127:128], v[74:75], s[36:37]
	v_fma_f64 v[125:126], v[70:71], s[24:25], v[125:126]
	v_add_f64 v[137:138], v[137:138], v[121:122]
	v_fma_f64 v[153:154], v[84:85], s[24:25], v[135:136]
	v_fma_f64 v[151:152], v[94:95], s[16:17], -v[133:134]
	v_add_f64 v[139:140], v[149:150], v[139:140]
	v_add_f64 v[121:122], v[147:148], v[129:130]
	v_add_f64 v[123:124], v[123:124], v[119:120]
	v_fma_f64 v[119:120], v[52:53], s[24:25], -v[143:144]
	v_mul_f64 v[129:130], v[80:81], s[36:37]
	v_add_f64 v[125:126], v[125:126], v[137:138]
	v_fma_f64 v[137:138], v[106:107], s[14:15], -v[145:146]
	v_fma_f64 v[141:142], v[90:91], s[14:15], v[141:142]
	v_add_f64 v[145:146], v[14:15], v[153:154]
	v_fma_f64 v[147:148], v[78:79], s[16:17], v[127:128]
	v_mul_f64 v[149:150], v[76:77], s[6:7]
	v_add_f64 v[153:154], v[12:13], v[119:120]
	v_fma_f64 v[155:156], v[58:59], s[16:17], -v[129:130]
	v_add_f64 v[119:120], v[151:152], v[139:140]
	v_add_f64 v[123:124], v[137:138], v[123:124]
	;; [unrolled: 1-line block ×3, first 2 shown]
	v_mul_f64 v[141:142], v[104:105], s[30:31]
	v_add_f64 v[137:138], v[147:148], v[145:146]
	v_fma_f64 v[139:140], v[88:89], s[4:5], v[149:150]
	v_mul_f64 v[157:158], v[82:83], s[6:7]
	v_fma_f64 v[131:132], v[108:109], s[16:17], -v[131:132]
	v_add_f64 v[145:146], v[155:156], v[153:154]
	v_add_f64 v[153:154], v[14:15], v[42:43]
	v_mul_f64 v[151:152], v[98:99], s[30:31]
	v_fma_f64 v[133:134], v[94:95], s[16:17], v[133:134]
	v_mul_f64 v[155:156], v[110:111], s[34:35]
	v_add_f64 v[137:138], v[139:140], v[137:138]
	v_fma_f64 v[139:140], v[106:107], s[28:29], v[141:142]
	v_fma_f64 v[147:148], v[70:71], s[4:5], -v[157:158]
	v_add_f64 v[42:43], v[131:132], v[123:124]
	v_fma_f64 v[123:124], v[84:85], s[24:25], -v[135:136]
	v_add_f64 v[131:132], v[12:13], v[40:41]
	v_mul_f64 v[159:160], v[102:103], s[34:35]
	v_fma_f64 v[127:128], v[78:79], s[16:17], -v[127:128]
	v_add_f64 v[40:41], v[133:134], v[125:126]
	v_add_f64 v[135:136], v[139:140], v[137:138]
	v_add_f64 v[139:140], v[153:154], v[46:47]
	v_add_f64 v[145:146], v[147:148], v[145:146]
	v_fma_f64 v[147:148], v[90:91], s[28:29], -v[151:152]
	v_fma_f64 v[137:138], v[108:109], s[14:15], v[155:156]
	v_add_f64 v[123:124], v[14:15], v[123:124]
	v_add_f64 v[125:126], v[131:132], v[44:45]
	v_fma_f64 v[131:132], v[52:53], s[24:25], v[143:144]
	v_mul_f64 v[133:134], v[64:65], s[22:23]
	v_add_f64 v[38:39], v[139:140], v[38:39]
	v_mul_f64 v[139:140], v[110:111], s[30:31]
	s_mov_b32 s31, 0x3fd207e7
	v_add_f64 v[145:146], v[147:148], v[145:146]
	v_fma_f64 v[147:148], v[94:95], s[14:15], -v[159:160]
	v_add_f64 v[46:47], v[137:138], v[135:136]
	v_add_f64 v[123:124], v[127:128], v[123:124]
	v_fma_f64 v[127:128], v[88:89], s[4:5], -v[149:150]
	v_mul_f64 v[135:136], v[62:63], s[22:23]
	v_fma_f64 v[129:130], v[58:59], s[16:17], v[129:130]
	v_add_f64 v[131:132], v[12:13], v[131:132]
	v_fma_f64 v[137:138], v[84:85], s[16:17], v[133:134]
	v_mul_f64 v[143:144], v[74:75], s[30:31]
	v_add_f64 v[44:45], v[147:148], v[145:146]
	v_add_f64 v[125:126], v[125:126], v[36:37]
	v_mul_f64 v[145:146], v[80:81], s[30:31]
	v_fma_f64 v[36:37], v[52:53], s[16:17], -v[135:136]
	v_add_f64 v[123:124], v[127:128], v[123:124]
	v_add_f64 v[127:128], v[129:130], v[131:132]
	v_fma_f64 v[129:130], v[70:71], s[4:5], v[157:158]
	v_add_f64 v[131:132], v[14:15], v[137:138]
	v_fma_f64 v[137:138], v[78:79], s[28:29], v[143:144]
	v_mul_f64 v[147:148], v[76:77], s[34:35]
	v_fma_f64 v[149:150], v[58:59], s[28:29], -v[145:146]
	v_add_f64 v[36:37], v[12:13], v[36:37]
	v_mul_f64 v[153:154], v[82:83], s[34:35]
	v_fma_f64 v[141:142], v[106:107], s[28:29], -v[141:142]
	v_add_f64 v[127:128], v[129:130], v[127:128]
	v_fma_f64 v[129:130], v[90:91], s[28:29], v[151:152]
	v_add_f64 v[131:132], v[137:138], v[131:132]
	v_fma_f64 v[137:138], v[88:89], s[14:15], v[147:148]
	v_mul_f64 v[151:152], v[104:105], s[6:7]
	v_add_f64 v[36:37], v[149:150], v[36:37]
	v_fma_f64 v[149:150], v[70:71], s[14:15], -v[153:154]
	v_mul_f64 v[157:158], v[98:99], s[6:7]
	v_add_f64 v[123:124], v[141:142], v[123:124]
	v_add_f64 v[127:128], v[129:130], v[127:128]
	v_fma_f64 v[129:130], v[108:109], s[14:15], -v[155:156]
	v_fma_f64 v[141:142], v[94:95], s[14:15], v[159:160]
	v_add_f64 v[131:132], v[137:138], v[131:132]
	v_fma_f64 v[137:138], v[106:107], s[4:5], v[151:152]
	v_mul_f64 v[159:160], v[110:111], s[26:27]
	v_add_f64 v[149:150], v[149:150], v[36:37]
	v_fma_f64 v[155:156], v[90:91], s[4:5], -v[157:158]
	v_mul_f64 v[161:162], v[102:103], s[26:27]
	v_add_f64 v[36:37], v[129:130], v[123:124]
	v_fma_f64 v[123:124], v[84:85], s[16:17], -v[133:134]
	v_add_f64 v[38:39], v[38:39], v[34:35]
	v_add_f64 v[32:33], v[125:126], v[32:33]
	;; [unrolled: 1-line block ×3, first 2 shown]
	v_fma_f64 v[131:132], v[108:109], s[24:25], v[159:160]
	v_add_f64 v[129:130], v[155:156], v[149:150]
	v_fma_f64 v[133:134], v[94:95], s[24:25], -v[161:162]
	v_fma_f64 v[137:138], v[78:79], s[28:29], -v[143:144]
	v_add_f64 v[123:124], v[14:15], v[123:124]
	v_add_f64 v[34:35], v[141:142], v[127:128]
	v_mul_f64 v[127:128], v[64:65], s[18:19]
	v_add_f64 v[38:39], v[38:39], v[26:27]
	v_add_f64 v[26:27], v[131:132], v[125:126]
	v_fma_f64 v[125:126], v[52:53], s[16:17], v[135:136]
	v_add_f64 v[32:33], v[32:33], v[24:25]
	v_add_f64 v[24:25], v[133:134], v[129:130]
	;; [unrolled: 1-line block ×3, first 2 shown]
	v_fma_f64 v[129:130], v[88:89], s[14:15], -v[147:148]
	v_fma_f64 v[131:132], v[84:85], s[14:15], v[127:128]
	v_mul_f64 v[133:134], v[74:75], s[26:27]
	v_add_f64 v[38:39], v[38:39], v[30:31]
	v_fma_f64 v[30:31], v[58:59], s[28:29], v[145:146]
	v_add_f64 v[125:126], v[12:13], v[125:126]
	v_fma_f64 v[84:85], v[84:85], s[14:15], -v[127:128]
	v_add_f64 v[28:29], v[32:33], v[28:29]
	v_mul_f64 v[32:33], v[62:63], s[18:19]
	v_add_f64 v[62:63], v[129:130], v[123:124]
	v_add_f64 v[123:124], v[14:15], v[131:132]
	v_fma_f64 v[129:130], v[78:79], s[24:25], v[133:134]
	v_mul_f64 v[131:132], v[76:77], s[30:31]
	v_add_f64 v[30:31], v[30:31], v[125:126]
	v_fma_f64 v[127:128], v[70:71], s[14:15], v[153:154]
	v_fma_f64 v[78:79], v[78:79], s[24:25], -v[133:134]
	v_add_f64 v[84:85], v[14:15], v[84:85]
	v_mul_f64 v[137:138], v[104:105], s[36:37]
	v_mul_f64 v[64:65], v[64:65], s[6:7]
	v_add_f64 v[123:124], v[129:130], v[123:124]
	v_fma_f64 v[129:130], v[88:89], s[28:29], v[131:132]
	v_fma_f64 v[88:89], v[88:89], s[28:29], -v[131:132]
	v_add_f64 v[30:31], v[127:128], v[30:31]
	v_fma_f64 v[127:128], v[90:91], s[4:5], v[157:158]
	v_add_f64 v[78:79], v[78:79], v[84:85]
	v_mul_f64 v[80:81], v[80:81], s[26:27]
	v_mul_f64 v[74:75], v[74:75], s[18:19]
	v_add_f64 v[60:61], v[60:61], -v[64:65]
	v_fma_f64 v[125:126], v[52:53], s[14:15], -v[32:33]
	v_fma_f64 v[32:33], v[52:53], s[14:15], v[32:33]
	v_mul_f64 v[64:65], v[70:71], s[16:17]
	v_add_f64 v[127:128], v[127:128], v[30:31]
	v_fma_f64 v[30:31], v[106:107], s[16:17], -v[137:138]
	v_add_f64 v[78:79], v[88:89], v[78:79]
	v_fma_f64 v[133:134], v[58:59], s[24:25], -v[80:81]
	v_add_f64 v[68:69], v[68:69], -v[74:75]
	v_mul_f64 v[74:75], v[76:77], s[22:23]
	v_add_f64 v[14:15], v[14:15], v[60:61]
	v_fma_f64 v[135:136], v[106:107], s[4:5], -v[151:152]
	v_add_f64 v[125:126], v[12:13], v[125:126]
	v_mul_f64 v[82:83], v[82:83], s[30:31]
	v_add_f64 v[78:79], v[30:31], v[78:79]
	v_mul_f64 v[30:31], v[52:53], s[4:5]
	v_fma_f64 v[52:53], v[58:59], s[24:25], v[80:81]
	v_mul_f64 v[58:59], v[58:59], s[14:15]
	v_mul_f64 v[80:81], v[104:105], s[26:27]
	v_add_f64 v[72:73], v[72:73], -v[74:75]
	v_add_f64 v[14:15], v[68:69], v[14:15]
	v_add_f64 v[22:23], v[38:39], v[22:23]
	;; [unrolled: 1-line block ×4, first 2 shown]
	v_mul_f64 v[76:77], v[90:91], s[24:25]
	v_add_f64 v[56:57], v[58:59], v[56:57]
	v_add_f64 v[64:65], v[64:65], v[66:67]
	;; [unrolled: 1-line block ×3, first 2 shown]
	v_fma_f64 v[84:85], v[106:107], s[16:17], v[137:138]
	v_fma_f64 v[129:130], v[70:71], s[28:29], -v[82:83]
	v_add_f64 v[62:63], v[135:136], v[62:63]
	v_add_f64 v[54:55], v[12:13], v[54:55]
	;; [unrolled: 1-line block ×3, first 2 shown]
	v_fma_f64 v[106:107], v[108:109], s[24:25], -v[159:160]
	v_mul_f64 v[98:99], v[98:99], s[36:37]
	v_fma_f64 v[70:71], v[70:71], s[28:29], v[82:83]
	v_add_f64 v[125:126], v[133:134], v[125:126]
	v_add_f64 v[14:15], v[72:73], v[14:15]
	;; [unrolled: 1-line block ×5, first 2 shown]
	v_add_f64 v[52:53], v[92:93], -v[80:81]
	v_add_f64 v[16:17], v[20:21], v[16:17]
	v_mul_f64 v[58:59], v[94:95], s[28:29]
	v_add_f64 v[54:55], v[76:77], v[86:87]
	v_mul_f64 v[110:111], v[110:111], s[0:1]
	v_add_f64 v[30:31], v[106:107], v[62:63]
	v_add_f64 v[20:21], v[64:65], v[28:29]
	v_mul_f64 v[62:63], v[102:103], s[0:1]
	v_fma_f64 v[38:39], v[90:91], s[16:17], v[98:99]
	v_add_f64 v[12:13], v[70:71], v[12:13]
	v_add_f64 v[88:89], v[129:130], v[125:126]
	v_fma_f64 v[32:33], v[90:91], s[16:17], -v[98:99]
	v_add_f64 v[28:29], v[100:101], -v[139:140]
	v_add_f64 v[14:15], v[52:53], v[14:15]
	v_add_f64 v[10:11], v[18:19], v[10:11]
	v_add_f64 v[18:19], v[16:17], v[8:9]
	v_add_f64 v[52:53], v[58:59], v[96:97]
	v_add_f64 v[20:21], v[54:55], v[20:21]
	v_add_f64 v[84:85], v[84:85], v[123:124]
	v_fma_f64 v[123:124], v[108:109], s[4:5], v[110:111]
	v_fma_f64 v[108:109], v[108:109], s[4:5], -v[110:111]
	v_fma_f64 v[22:23], v[94:95], s[4:5], v[62:63]
	v_add_f64 v[38:39], v[38:39], v[12:13]
	v_fma_f64 v[60:61], v[94:95], s[24:25], v[161:162]
	v_fma_f64 v[54:55], v[94:95], s[4:5], -v[62:63]
	v_add_f64 v[32:33], v[32:33], v[88:89]
	v_add_f64 v[12:13], v[28:29], v[14:15]
	;; [unrolled: 1-line block ×8, first 2 shown]
	v_mul_u32_u24_e32 v4, 0xa0, v112
	v_add3_u32 v4, v116, v4, v117
	v_add_f64 v[20:21], v[123:124], v[84:85]
	v_add_f64 v[18:19], v[54:55], v[32:33]
	ds_write_b128 v4, v[14:17]
	ds_write_b128 v4, v[10:13] offset:16
	ds_write_b128 v4, v[6:9] offset:32
	;; [unrolled: 1-line block ×10, first 2 shown]
.LBB0_14:
	s_or_b64 exec, exec, s[8:9]
	s_movk_i32 s0, 0x75
	v_mul_lo_u16_sdwa v4, v112, s0 dst_sel:DWORD dst_unused:UNUSED_PAD src0_sel:BYTE_0 src1_sel:DWORD
	v_sub_u16_sdwa v5, v112, v4 dst_sel:DWORD dst_unused:UNUSED_PAD src0_sel:DWORD src1_sel:BYTE_1
	v_lshrrev_b16_e32 v5, 1, v5
	v_and_b32_e32 v5, 0x7f, v5
	v_add_u16_sdwa v4, v5, v4 dst_sel:DWORD dst_unused:UNUSED_PAD src0_sel:DWORD src1_sel:BYTE_1
	v_lshrrev_b16_e32 v102, 3, v4
	v_mul_lo_u16_e32 v4, 11, v102
	v_sub_u16_e32 v103, v112, v4
	v_mov_b32_e32 v4, 9
	v_mul_u32_u24_sdwa v4, v103, v4 dst_sel:DWORD dst_unused:UNUSED_PAD src0_sel:BYTE_0 src1_sel:DWORD
	v_lshlrev_b32_e32 v40, 4, v4
	s_load_dwordx2 s[4:5], s[2:3], 0x0
	s_waitcnt lgkmcnt(0)
	s_barrier
	global_load_dwordx4 v[4:7], v40, s[12:13]
	global_load_dwordx4 v[8:11], v40, s[12:13] offset:16
	global_load_dwordx4 v[12:15], v40, s[12:13] offset:32
	;; [unrolled: 1-line block ×8, first 2 shown]
	ds_read_b128 v[40:43], v118
	ds_read_b128 v[44:47], v113 offset:528
	ds_read_b128 v[52:55], v113 offset:1056
	;; [unrolled: 1-line block ×9, first 2 shown]
	s_mov_b32 s14, 0x134454ff
	s_mov_b32 s15, 0xbfee6f0e
	;; [unrolled: 1-line block ×12, first 2 shown]
	s_waitcnt vmcnt(0) lgkmcnt(0)
	s_barrier
	v_mul_f64 v[84:85], v[46:47], v[6:7]
	v_mul_f64 v[6:7], v[44:45], v[6:7]
	;; [unrolled: 1-line block ×18, first 2 shown]
	v_fma_f64 v[44:45], v[44:45], v[4:5], v[84:85]
	v_fma_f64 v[4:5], v[46:47], v[4:5], -v[6:7]
	v_fma_f64 v[6:7], v[52:53], v[8:9], v[86:87]
	v_fma_f64 v[8:9], v[54:55], v[8:9], -v[10:11]
	;; [unrolled: 2-line block ×6, first 2 shown]
	v_fma_f64 v[26:27], v[78:79], v[32:33], -v[34:35]
	v_fma_f64 v[34:35], v[72:73], v[28:29], v[96:97]
	v_fma_f64 v[28:29], v[74:75], v[28:29], -v[30:31]
	v_fma_f64 v[30:31], v[76:77], v[32:33], v[98:99]
	v_fma_f64 v[32:33], v[80:81], v[36:37], v[100:101]
	v_fma_f64 v[36:37], v[82:83], v[36:37], -v[38:39]
	v_add_f64 v[38:39], v[40:41], v[6:7]
	v_add_f64 v[46:47], v[14:15], v[22:23]
	v_add_f64 v[56:57], v[6:7], -v[14:15]
	v_add_f64 v[66:67], v[42:43], v[8:9]
	v_add_f64 v[68:69], v[16:17], v[24:25]
	v_add_f64 v[58:59], v[30:31], -v[22:23]
	v_add_f64 v[60:61], v[6:7], v[30:31]
	v_add_f64 v[52:53], v[8:9], -v[26:27]
	v_add_f64 v[54:55], v[16:17], -v[24:25]
	;; [unrolled: 1-line block ×6, first 2 shown]
	v_add_f64 v[76:77], v[8:9], v[26:27]
	v_add_f64 v[8:9], v[16:17], -v[8:9]
	v_add_f64 v[14:15], v[38:39], v[14:15]
	v_fma_f64 v[38:39], v[46:47], -0.5, v[40:41]
	v_add_f64 v[46:47], v[56:57], v[58:59]
	v_fma_f64 v[40:41], v[60:61], -0.5, v[40:41]
	;; [unrolled: 2-line block ×3, first 2 shown]
	v_add_f64 v[64:65], v[22:23], -v[30:31]
	v_add_f64 v[74:75], v[26:27], -v[24:25]
	;; [unrolled: 1-line block ×3, first 2 shown]
	v_add_f64 v[82:83], v[18:19], v[34:35]
	v_fma_f64 v[42:43], v[76:77], -0.5, v[42:43]
	v_add_f64 v[14:15], v[14:15], v[22:23]
	v_fma_f64 v[22:23], v[52:53], s[14:15], v[38:39]
	v_fma_f64 v[38:39], v[52:53], s[2:3], v[38:39]
	;; [unrolled: 1-line block ×3, first 2 shown]
	v_add_f64 v[16:17], v[16:17], v[24:25]
	v_fma_f64 v[24:25], v[6:7], s[2:3], v[58:59]
	v_add_f64 v[80:81], v[44:45], v[10:11]
	v_add_f64 v[84:85], v[12:13], -v[36:37]
	v_add_f64 v[56:57], v[62:63], v[64:65]
	v_add_f64 v[60:61], v[72:73], v[74:75]
	v_fma_f64 v[64:65], v[82:83], -0.5, v[44:45]
	v_fma_f64 v[40:41], v[54:55], s[14:15], v[40:41]
	v_fma_f64 v[58:59], v[6:7], s[14:15], v[58:59]
	;; [unrolled: 1-line block ×8, first 2 shown]
	v_add_f64 v[86:87], v[20:21], -v[28:29]
	v_add_f64 v[88:89], v[10:11], -v[18:19]
	v_add_f64 v[62:63], v[80:81], v[18:19]
	v_fma_f64 v[72:73], v[84:85], s[14:15], v[64:65]
	v_fma_f64 v[40:41], v[52:53], s[6:7], v[40:41]
	;; [unrolled: 1-line block ×3, first 2 shown]
	v_add_f64 v[30:31], v[14:15], v[30:31]
	v_add_f64 v[58:59], v[16:17], v[26:27]
	v_fma_f64 v[66:67], v[46:47], s[0:1], v[22:23]
	v_fma_f64 v[38:39], v[46:47], s[0:1], v[38:39]
	v_fma_f64 v[46:47], v[56:57], s[0:1], v[54:55]
	v_fma_f64 v[54:55], v[60:61], s[0:1], v[24:25]
	v_add_f64 v[14:15], v[32:33], -v[34:35]
	v_add_f64 v[16:17], v[10:11], v[32:33]
	v_fma_f64 v[22:23], v[6:7], s[6:7], v[68:69]
	v_add_f64 v[24:25], v[20:21], v[28:29]
	v_add_f64 v[8:9], v[8:9], v[78:79]
	v_fma_f64 v[6:7], v[6:7], s[8:9], v[42:43]
	v_fma_f64 v[40:41], v[56:57], s[0:1], v[40:41]
	;; [unrolled: 1-line block ×3, first 2 shown]
	v_add_f64 v[26:27], v[62:63], v[34:35]
	v_fma_f64 v[42:43], v[86:87], s[8:9], v[72:73]
	v_add_f64 v[14:15], v[88:89], v[14:15]
	v_fma_f64 v[16:17], v[16:17], -0.5, v[44:45]
	v_fma_f64 v[44:45], v[84:85], s[2:3], v[64:65]
	v_fma_f64 v[24:25], v[24:25], -0.5, v[4:5]
	v_add_f64 v[56:57], v[10:11], -v[32:33]
	v_fma_f64 v[60:61], v[8:9], s[0:1], v[22:23]
	v_fma_f64 v[6:7], v[8:9], s[0:1], v[6:7]
	v_add_f64 v[8:9], v[12:13], v[36:37]
	v_add_f64 v[62:63], v[26:27], v[32:33]
	v_fma_f64 v[26:27], v[14:15], s[0:1], v[42:43]
	v_fma_f64 v[42:43], v[86:87], s[6:7], v[44:45]
	v_add_f64 v[64:65], v[18:19], -v[34:35]
	v_fma_f64 v[44:45], v[56:57], s[2:3], v[24:25]
	v_add_f64 v[68:69], v[12:13], -v[20:21]
	v_add_f64 v[70:71], v[36:37], -v[28:29]
	v_fma_f64 v[8:9], v[8:9], -0.5, v[4:5]
	v_add_f64 v[4:5], v[4:5], v[12:13]
	v_fma_f64 v[22:23], v[86:87], s[2:3], v[16:17]
	v_add_f64 v[10:11], v[18:19], -v[10:11]
	v_add_f64 v[18:19], v[34:35], -v[32:33]
	v_fma_f64 v[16:17], v[86:87], s[14:15], v[16:17]
	v_fma_f64 v[32:33], v[64:65], s[6:7], v[44:45]
	v_add_f64 v[34:35], v[68:69], v[70:71]
	v_fma_f64 v[44:45], v[64:65], s[14:15], v[8:9]
	v_add_f64 v[12:13], v[20:21], -v[12:13]
	v_add_f64 v[68:69], v[28:29], -v[36:37]
	v_fma_f64 v[8:9], v[64:65], s[2:3], v[8:9]
	v_add_f64 v[4:5], v[4:5], v[20:21]
	v_fma_f64 v[20:21], v[56:57], s[14:15], v[24:25]
	v_fma_f64 v[22:23], v[84:85], s[8:9], v[22:23]
	v_add_f64 v[10:11], v[10:11], v[18:19]
	v_fma_f64 v[16:17], v[84:85], s[6:7], v[16:17]
	v_fma_f64 v[18:19], v[34:35], s[0:1], v[32:33]
	;; [unrolled: 1-line block ×3, first 2 shown]
	v_add_f64 v[12:13], v[12:13], v[68:69]
	v_fma_f64 v[8:9], v[56:57], s[8:9], v[8:9]
	v_add_f64 v[4:5], v[4:5], v[28:29]
	v_fma_f64 v[20:21], v[64:65], s[8:9], v[20:21]
	v_fma_f64 v[22:23], v[10:11], s[0:1], v[22:23]
	;; [unrolled: 1-line block ×3, first 2 shown]
	v_mul_f64 v[16:17], v[18:19], s[8:9]
	v_fma_f64 v[14:15], v[14:15], s[0:1], v[42:43]
	v_fma_f64 v[24:25], v[12:13], s[0:1], v[24:25]
	;; [unrolled: 1-line block ×3, first 2 shown]
	v_add_f64 v[42:43], v[4:5], v[36:37]
	v_fma_f64 v[4:5], v[34:35], s[0:1], v[20:21]
	v_mul_f64 v[18:19], v[18:19], s[16:17]
	v_add_f64 v[8:9], v[30:31], v[62:63]
	v_fma_f64 v[32:33], v[26:27], s[16:17], v[16:17]
	v_mul_f64 v[16:17], v[24:25], s[14:15]
	v_mul_f64 v[20:21], v[12:13], s[14:15]
	s_mov_b32 s15, 0xbfd3c6ef
	s_mov_b32 s14, s0
	v_mul_f64 v[24:25], v[24:25], s[0:1]
	v_mul_f64 v[28:29], v[4:5], s[8:9]
	s_mov_b32 s9, 0xbfe9e377
	s_mov_b32 s8, s16
	v_mul_f64 v[34:35], v[12:13], s[14:15]
	v_mul_f64 v[4:5], v[4:5], s[8:9]
	v_fma_f64 v[64:65], v[26:27], s[6:7], v[18:19]
	v_fma_f64 v[36:37], v[22:23], s[0:1], v[16:17]
	;; [unrolled: 1-line block ×5, first 2 shown]
	v_add_f64 v[12:13], v[66:67], v[32:33]
	v_fma_f64 v[70:71], v[10:11], s[2:3], v[34:35]
	v_fma_f64 v[72:73], v[14:15], s[6:7], v[4:5]
	v_add_f64 v[10:11], v[58:59], v[42:43]
	v_add_f64 v[14:15], v[54:55], v[64:65]
	;; [unrolled: 1-line block ×8, first 2 shown]
	v_add_f64 v[28:29], v[30:31], -v[62:63]
	v_add_f64 v[40:41], v[40:41], -v[44:45]
	;; [unrolled: 1-line block ×3, first 2 shown]
	s_movk_i32 s0, 0x6e0
	v_mov_b32_e32 v45, 4
	v_add_f64 v[32:33], v[66:67], -v[32:33]
	v_add_f64 v[34:35], v[54:55], -v[64:65]
	v_mad_u32_u24 v44, v102, s0, 0
	v_lshlrev_b32_sdwa v45, v45, v103 dst_sel:DWORD dst_unused:UNUSED_PAD src0_sel:DWORD src1_sel:BYTE_0
	v_add_f64 v[36:37], v[46:47], -v[36:37]
	v_add_f64 v[4:5], v[38:39], -v[56:57]
	;; [unrolled: 1-line block ×4, first 2 shown]
	v_add3_u32 v44, v44, v45, v117
	v_add_f64 v[6:7], v[52:53], -v[72:73]
	ds_write_b128 v44, v[8:11]
	ds_write_b128 v44, v[12:15] offset:176
	ds_write_b128 v44, v[16:19] offset:352
	ds_write_b128 v44, v[20:23] offset:528
	ds_write_b128 v44, v[24:27] offset:704
	ds_write_b128 v44, v[28:31] offset:880
	ds_write_b128 v44, v[32:35] offset:1056
	ds_write_b128 v44, v[36:39] offset:1232
	ds_write_b128 v44, v[40:43] offset:1408
	ds_write_b128 v44, v[4:7] offset:1584
	s_waitcnt lgkmcnt(0)
	s_barrier
	ds_read_b128 v[16:19], v118
	ds_read_b128 v[12:15], v113 offset:528
	ds_read_b128 v[32:35], v113 offset:3520
	;; [unrolled: 1-line block ×8, first 2 shown]
	v_cmp_gt_u32_e64 s[0:1], 11, v112
                                        ; implicit-def: $vgpr10_vgpr11
	s_and_saveexec_b64 s[2:3], s[0:1]
	s_cbranch_execz .LBB0_16
; %bb.15:
	ds_read_b128 v[4:7], v113 offset:1584
	ds_read_b128 v[0:3], v113 offset:3344
	;; [unrolled: 1-line block ×3, first 2 shown]
.LBB0_16:
	s_or_b64 exec, exec, s[2:3]
	v_lshlrev_b32_e32 v52, 1, v112
	v_mov_b32_e32 v53, 0
	v_lshlrev_b64 v[54:55], 4, v[52:53]
	v_mov_b32_e32 v72, s13
	v_add_co_u32_e64 v62, s[2:3], s12, v54
	v_addc_co_u32_e64 v63, s[2:3], v72, v55, s[2:3]
	global_load_dwordx4 v[54:57], v[62:63], off offset:1600
	global_load_dwordx4 v[58:61], v[62:63], off offset:1584
	v_add_u32_e32 v62, 0x42, v52
	v_mov_b32_e32 v63, v53
	v_lshlrev_b64 v[62:63], 4, v[62:63]
	v_add_u32_e32 v52, 0x84, v52
	v_add_co_u32_e64 v70, s[2:3], s12, v62
	v_addc_co_u32_e64 v71, s[2:3], v72, v63, s[2:3]
	global_load_dwordx4 v[62:65], v[70:71], off offset:1600
	global_load_dwordx4 v[66:69], v[70:71], off offset:1584
	v_lshlrev_b64 v[70:71], 4, v[52:53]
	s_mov_b32 s7, 0x3febb67a
	v_add_co_u32_e64 v78, s[2:3], s12, v70
	v_addc_co_u32_e64 v79, s[2:3], v72, v71, s[2:3]
	global_load_dwordx4 v[70:73], v[78:79], off offset:1584
	global_load_dwordx4 v[74:77], v[78:79], off offset:1600
	s_mov_b32 s2, 0xe8584caa
	s_mov_b32 s3, 0xbfebb67a
	;; [unrolled: 1-line block ×3, first 2 shown]
	s_waitcnt vmcnt(0) lgkmcnt(0)
	s_barrier
	v_lshl_add_u32 v52, v114, 4, v116
	v_mul_f64 v[80:81], v[34:35], v[56:57]
	v_mul_f64 v[78:79], v[46:47], v[60:61]
	;; [unrolled: 1-line block ×4, first 2 shown]
	v_fma_f64 v[32:33], v[32:33], v[54:55], v[80:81]
	v_mul_f64 v[84:85], v[26:27], v[64:65]
	v_mul_f64 v[82:83], v[42:43], v[68:69]
	;; [unrolled: 1-line block ×4, first 2 shown]
	v_fma_f64 v[44:45], v[44:45], v[58:59], v[78:79]
	v_fma_f64 v[46:47], v[46:47], v[58:59], -v[60:61]
	v_fma_f64 v[34:35], v[34:35], v[54:55], -v[56:57]
	v_mul_f64 v[86:87], v[38:39], v[72:73]
	v_mul_f64 v[72:73], v[36:37], v[72:73]
	;; [unrolled: 1-line block ×4, first 2 shown]
	v_fma_f64 v[40:41], v[40:41], v[66:67], v[82:83]
	v_fma_f64 v[42:43], v[42:43], v[66:67], -v[68:69]
	v_fma_f64 v[54:55], v[24:25], v[62:63], v[84:85]
	v_fma_f64 v[56:57], v[26:27], v[62:63], -v[64:65]
	;; [unrolled: 2-line block ×4, first 2 shown]
	v_add_f64 v[36:37], v[16:17], v[44:45]
	v_add_f64 v[38:39], v[44:45], v[32:33]
	v_add_f64 v[58:59], v[46:47], -v[34:35]
	v_add_f64 v[60:61], v[18:19], v[46:47]
	v_add_f64 v[46:47], v[46:47], v[34:35]
	;; [unrolled: 1-line block ×3, first 2 shown]
	v_add_f64 v[66:67], v[42:43], -v[56:57]
	v_add_f64 v[68:69], v[14:15], v[42:43]
	v_add_f64 v[42:43], v[42:43], v[56:57]
	;; [unrolled: 1-line block ×7, first 2 shown]
	v_add_f64 v[44:45], v[44:45], -v[32:33]
	v_add_f64 v[74:75], v[26:27], -v[30:31]
	;; [unrolled: 1-line block ×3, first 2 shown]
	v_add_f64 v[24:25], v[36:37], v[32:33]
	v_fma_f64 v[32:33], v[38:39], -0.5, v[16:17]
	v_add_f64 v[26:27], v[60:61], v[34:35]
	v_fma_f64 v[34:35], v[46:47], -0.5, v[18:19]
	v_add_f64 v[40:41], v[40:41], -v[54:55]
	v_fma_f64 v[36:37], v[64:65], -0.5, v[12:13]
	v_fma_f64 v[38:39], v[42:43], -0.5, v[14:15]
	;; [unrolled: 1-line block ×4, first 2 shown]
	v_add_f64 v[16:17], v[62:63], v[54:55]
	v_add_f64 v[18:19], v[68:69], v[56:57]
	v_add_f64 v[12:13], v[70:71], v[28:29]
	v_add_f64 v[14:15], v[76:77], v[30:31]
	v_fma_f64 v[20:21], v[58:59], s[2:3], v[32:33]
	v_fma_f64 v[22:23], v[44:45], s[6:7], v[34:35]
	v_fma_f64 v[28:29], v[58:59], s[6:7], v[32:33]
	v_fma_f64 v[30:31], v[44:45], s[2:3], v[34:35]
	ds_write_b128 v113, v[24:27]
	v_fma_f64 v[24:25], v[66:67], s[2:3], v[36:37]
	v_fma_f64 v[26:27], v[40:41], s[6:7], v[38:39]
	;; [unrolled: 1-line block ×8, first 2 shown]
	ds_write_b128 v113, v[16:19] offset:528
	ds_write_b128 v113, v[12:15] offset:1056
	;; [unrolled: 1-line block ×8, first 2 shown]
	s_and_saveexec_b64 s[8:9], s[0:1]
	s_cbranch_execz .LBB0_18
; %bb.17:
	v_mov_b32_e32 v12, 0x63
	v_cndmask_b32_e64 v12, -11, v12, s[0:1]
	v_add_lshl_u32 v52, v112, v12, 1
	v_lshlrev_b64 v[12:13], 4, v[52:53]
	v_mov_b32_e32 v14, s13
	v_add_co_u32_e64 v20, s[0:1], s12, v12
	v_addc_co_u32_e64 v21, s[0:1], v14, v13, s[0:1]
	global_load_dwordx4 v[12:15], v[20:21], off offset:1584
	global_load_dwordx4 v[16:19], v[20:21], off offset:1600
	s_waitcnt vmcnt(1)
	v_mul_f64 v[20:21], v[0:1], v[14:15]
	s_waitcnt vmcnt(0)
	v_mul_f64 v[22:23], v[8:9], v[18:19]
	v_mul_f64 v[14:15], v[2:3], v[14:15]
	;; [unrolled: 1-line block ×3, first 2 shown]
	v_fma_f64 v[2:3], v[2:3], v[12:13], -v[20:21]
	v_fma_f64 v[10:11], v[10:11], v[16:17], -v[22:23]
	v_fma_f64 v[0:1], v[0:1], v[12:13], v[14:15]
	v_fma_f64 v[8:9], v[8:9], v[16:17], v[18:19]
	v_add_f64 v[18:19], v[6:7], v[2:3]
	v_add_f64 v[12:13], v[2:3], v[10:11]
	v_add_f64 v[20:21], v[2:3], -v[10:11]
	v_add_f64 v[14:15], v[0:1], v[8:9]
	v_add_f64 v[16:17], v[0:1], -v[8:9]
	v_add_f64 v[0:1], v[4:5], v[0:1]
	v_add_f64 v[2:3], v[18:19], v[10:11]
	v_fma_f64 v[12:13], v[12:13], -0.5, v[6:7]
	v_fma_f64 v[4:5], v[14:15], -0.5, v[4:5]
	v_add_f64 v[0:1], v[0:1], v[8:9]
	v_fma_f64 v[10:11], v[16:17], s[6:7], v[12:13]
	v_fma_f64 v[6:7], v[16:17], s[2:3], v[12:13]
	;; [unrolled: 1-line block ×4, first 2 shown]
	ds_write_b128 v113, v[0:3] offset:1584
	ds_write_b128 v113, v[8:11] offset:3344
	;; [unrolled: 1-line block ×3, first 2 shown]
.LBB0_18:
	s_or_b64 exec, exec, s[8:9]
	s_waitcnt lgkmcnt(0)
	s_barrier
	s_and_saveexec_b64 s[0:1], vcc
	s_cbranch_execz .LBB0_20
; %bb.19:
	v_mul_lo_u32 v2, s5, v50
	v_mul_lo_u32 v3, s4, v51
	v_mad_u64_u32 v[6:7], s[0:1], s4, v50, 0
	v_mad_u64_u32 v[4:5], s[0:1], s20, v112, 0
	v_add3_u32 v7, v7, v3, v2
	v_lshlrev_b64 v[6:7], 4, v[6:7]
	v_mov_b32_e32 v0, v5
	v_mad_u64_u32 v[0:1], s[0:1], s21, v112, v[0:1]
	v_mov_b32_e32 v8, s11
	v_add_co_u32_e32 v10, vcc, s10, v6
	v_add_u32_e32 v12, 33, v112
	v_addc_co_u32_e32 v11, vcc, v8, v7, vcc
	v_mad_u64_u32 v[8:9], s[0:1], s20, v12, 0
	v_lshl_add_u32 v13, v112, 4, v115
	v_lshlrev_b64 v[6:7], 4, v[48:49]
	v_mov_b32_e32 v5, v0
	ds_read_b128 v[0:3], v13
	v_add_co_u32_e32 v14, vcc, v10, v6
	v_lshlrev_b64 v[4:5], 4, v[4:5]
	v_mov_b32_e32 v6, v9
	v_addc_co_u32_e32 v15, vcc, v11, v7, vcc
	v_mad_u64_u32 v[9:10], s[0:1], s21, v12, v[6:7]
	v_add_co_u32_e32 v10, vcc, v14, v4
	v_addc_co_u32_e32 v11, vcc, v15, v5, vcc
	ds_read_b128 v[4:7], v13 offset:528
	s_waitcnt lgkmcnt(1)
	global_store_dwordx4 v[10:11], v[0:3], off
	s_nop 0
	v_add_u32_e32 v2, 0x42, v112
	v_lshlrev_b64 v[0:1], 4, v[8:9]
	v_mad_u64_u32 v[8:9], s[0:1], s20, v2, 0
	v_add_co_u32_e32 v0, vcc, v14, v0
	v_addc_co_u32_e32 v1, vcc, v15, v1, vcc
	s_waitcnt lgkmcnt(0)
	global_store_dwordx4 v[0:1], v[4:7], off
	v_mov_b32_e32 v0, v9
	v_add_u32_e32 v7, 0x63, v112
	v_mad_u64_u32 v[0:1], s[0:1], s21, v2, v[0:1]
	v_mad_u64_u32 v[10:11], s[0:1], s20, v7, 0
	v_mov_b32_e32 v9, v0
	ds_read_b128 v[0:3], v13 offset:1056
	v_mov_b32_e32 v6, v11
	v_lshlrev_b64 v[4:5], 4, v[8:9]
	v_mad_u64_u32 v[8:9], s[0:1], s21, v7, v[6:7]
	v_add_co_u32_e32 v11, vcc, v14, v4
	v_addc_co_u32_e32 v12, vcc, v15, v5, vcc
	ds_read_b128 v[4:7], v13 offset:1584
	s_waitcnt lgkmcnt(1)
	global_store_dwordx4 v[11:12], v[0:3], off
	v_mov_b32_e32 v11, v8
	v_add_u32_e32 v2, 0x84, v112
	v_lshlrev_b64 v[0:1], 4, v[10:11]
	v_mad_u64_u32 v[8:9], s[0:1], s20, v2, 0
	v_add_co_u32_e32 v0, vcc, v14, v0
	v_addc_co_u32_e32 v1, vcc, v15, v1, vcc
	s_waitcnt lgkmcnt(0)
	global_store_dwordx4 v[0:1], v[4:7], off
	v_mov_b32_e32 v0, v9
	v_add_u32_e32 v7, 0xa5, v112
	v_mad_u64_u32 v[0:1], s[0:1], s21, v2, v[0:1]
	v_mad_u64_u32 v[10:11], s[0:1], s20, v7, 0
	v_mov_b32_e32 v9, v0
	ds_read_b128 v[0:3], v13 offset:2112
	v_mov_b32_e32 v6, v11
	v_lshlrev_b64 v[4:5], 4, v[8:9]
	v_mad_u64_u32 v[8:9], s[0:1], s21, v7, v[6:7]
	v_add_co_u32_e32 v11, vcc, v14, v4
	v_addc_co_u32_e32 v12, vcc, v15, v5, vcc
	ds_read_b128 v[4:7], v13 offset:2640
	s_waitcnt lgkmcnt(1)
	global_store_dwordx4 v[11:12], v[0:3], off
	v_mov_b32_e32 v11, v8
	;; [unrolled: 22-line block ×4, first 2 shown]
	v_lshlrev_b64 v[0:1], 4, v[10:11]
	v_add_co_u32_e32 v0, vcc, v14, v0
	v_addc_co_u32_e32 v1, vcc, v15, v1, vcc
	s_waitcnt lgkmcnt(0)
	global_store_dwordx4 v[0:1], v[4:7], off
.LBB0_20:
	s_endpgm
	.section	.rodata,"a",@progbits
	.p2align	6, 0x0
	.amdhsa_kernel fft_rtc_back_len330_factors_11_10_3_wgs_99_tpt_33_dp_op_CI_CI_sbrr_dirReg
		.amdhsa_group_segment_fixed_size 0
		.amdhsa_private_segment_fixed_size 0
		.amdhsa_kernarg_size 104
		.amdhsa_user_sgpr_count 6
		.amdhsa_user_sgpr_private_segment_buffer 1
		.amdhsa_user_sgpr_dispatch_ptr 0
		.amdhsa_user_sgpr_queue_ptr 0
		.amdhsa_user_sgpr_kernarg_segment_ptr 1
		.amdhsa_user_sgpr_dispatch_id 0
		.amdhsa_user_sgpr_flat_scratch_init 0
		.amdhsa_user_sgpr_private_segment_size 0
		.amdhsa_uses_dynamic_stack 0
		.amdhsa_system_sgpr_private_segment_wavefront_offset 0
		.amdhsa_system_sgpr_workgroup_id_x 1
		.amdhsa_system_sgpr_workgroup_id_y 0
		.amdhsa_system_sgpr_workgroup_id_z 0
		.amdhsa_system_sgpr_workgroup_info 0
		.amdhsa_system_vgpr_workitem_id 0
		.amdhsa_next_free_vgpr 163
		.amdhsa_next_free_sgpr 38
		.amdhsa_reserve_vcc 1
		.amdhsa_reserve_flat_scratch 0
		.amdhsa_float_round_mode_32 0
		.amdhsa_float_round_mode_16_64 0
		.amdhsa_float_denorm_mode_32 3
		.amdhsa_float_denorm_mode_16_64 3
		.amdhsa_dx10_clamp 1
		.amdhsa_ieee_mode 1
		.amdhsa_fp16_overflow 0
		.amdhsa_exception_fp_ieee_invalid_op 0
		.amdhsa_exception_fp_denorm_src 0
		.amdhsa_exception_fp_ieee_div_zero 0
		.amdhsa_exception_fp_ieee_overflow 0
		.amdhsa_exception_fp_ieee_underflow 0
		.amdhsa_exception_fp_ieee_inexact 0
		.amdhsa_exception_int_div_zero 0
	.end_amdhsa_kernel
	.text
.Lfunc_end0:
	.size	fft_rtc_back_len330_factors_11_10_3_wgs_99_tpt_33_dp_op_CI_CI_sbrr_dirReg, .Lfunc_end0-fft_rtc_back_len330_factors_11_10_3_wgs_99_tpt_33_dp_op_CI_CI_sbrr_dirReg
                                        ; -- End function
	.section	.AMDGPU.csdata,"",@progbits
; Kernel info:
; codeLenInByte = 8908
; NumSgprs: 42
; NumVgprs: 163
; ScratchSize: 0
; MemoryBound: 0
; FloatMode: 240
; IeeeMode: 1
; LDSByteSize: 0 bytes/workgroup (compile time only)
; SGPRBlocks: 5
; VGPRBlocks: 40
; NumSGPRsForWavesPerEU: 42
; NumVGPRsForWavesPerEU: 163
; Occupancy: 1
; WaveLimiterHint : 1
; COMPUTE_PGM_RSRC2:SCRATCH_EN: 0
; COMPUTE_PGM_RSRC2:USER_SGPR: 6
; COMPUTE_PGM_RSRC2:TRAP_HANDLER: 0
; COMPUTE_PGM_RSRC2:TGID_X_EN: 1
; COMPUTE_PGM_RSRC2:TGID_Y_EN: 0
; COMPUTE_PGM_RSRC2:TGID_Z_EN: 0
; COMPUTE_PGM_RSRC2:TIDIG_COMP_CNT: 0
	.type	__hip_cuid_4b8e9c547e40aa83,@object ; @__hip_cuid_4b8e9c547e40aa83
	.section	.bss,"aw",@nobits
	.globl	__hip_cuid_4b8e9c547e40aa83
__hip_cuid_4b8e9c547e40aa83:
	.byte	0                               ; 0x0
	.size	__hip_cuid_4b8e9c547e40aa83, 1

	.ident	"AMD clang version 19.0.0git (https://github.com/RadeonOpenCompute/llvm-project roc-6.4.0 25133 c7fe45cf4b819c5991fe208aaa96edf142730f1d)"
	.section	".note.GNU-stack","",@progbits
	.addrsig
	.addrsig_sym __hip_cuid_4b8e9c547e40aa83
	.amdgpu_metadata
---
amdhsa.kernels:
  - .args:
      - .actual_access:  read_only
        .address_space:  global
        .offset:         0
        .size:           8
        .value_kind:     global_buffer
      - .offset:         8
        .size:           8
        .value_kind:     by_value
      - .actual_access:  read_only
        .address_space:  global
        .offset:         16
        .size:           8
        .value_kind:     global_buffer
      - .actual_access:  read_only
        .address_space:  global
        .offset:         24
        .size:           8
        .value_kind:     global_buffer
      - .actual_access:  read_only
        .address_space:  global
        .offset:         32
        .size:           8
        .value_kind:     global_buffer
      - .offset:         40
        .size:           8
        .value_kind:     by_value
      - .actual_access:  read_only
        .address_space:  global
        .offset:         48
        .size:           8
        .value_kind:     global_buffer
      - .actual_access:  read_only
        .address_space:  global
        .offset:         56
        .size:           8
        .value_kind:     global_buffer
      - .offset:         64
        .size:           4
        .value_kind:     by_value
      - .actual_access:  read_only
        .address_space:  global
        .offset:         72
        .size:           8
        .value_kind:     global_buffer
      - .actual_access:  read_only
        .address_space:  global
        .offset:         80
        .size:           8
        .value_kind:     global_buffer
      - .actual_access:  read_only
        .address_space:  global
        .offset:         88
        .size:           8
        .value_kind:     global_buffer
      - .actual_access:  write_only
        .address_space:  global
        .offset:         96
        .size:           8
        .value_kind:     global_buffer
    .group_segment_fixed_size: 0
    .kernarg_segment_align: 8
    .kernarg_segment_size: 104
    .language:       OpenCL C
    .language_version:
      - 2
      - 0
    .max_flat_workgroup_size: 99
    .name:           fft_rtc_back_len330_factors_11_10_3_wgs_99_tpt_33_dp_op_CI_CI_sbrr_dirReg
    .private_segment_fixed_size: 0
    .sgpr_count:     42
    .sgpr_spill_count: 0
    .symbol:         fft_rtc_back_len330_factors_11_10_3_wgs_99_tpt_33_dp_op_CI_CI_sbrr_dirReg.kd
    .uniform_work_group_size: 1
    .uses_dynamic_stack: false
    .vgpr_count:     163
    .vgpr_spill_count: 0
    .wavefront_size: 64
amdhsa.target:   amdgcn-amd-amdhsa--gfx906
amdhsa.version:
  - 1
  - 2
...

	.end_amdgpu_metadata
